;; amdgpu-corpus repo=ROCm/rocFFT kind=compiled arch=gfx950 opt=O3
	.text
	.amdgcn_target "amdgcn-amd-amdhsa--gfx950"
	.amdhsa_code_object_version 6
	.protected	fft_rtc_back_len128_factors_16_8_wgs_256_tpt_16_dp_op_CI_CI_sbcc_twdbase8_3step_dirReg ; -- Begin function fft_rtc_back_len128_factors_16_8_wgs_256_tpt_16_dp_op_CI_CI_sbcc_twdbase8_3step_dirReg
	.globl	fft_rtc_back_len128_factors_16_8_wgs_256_tpt_16_dp_op_CI_CI_sbcc_twdbase8_3step_dirReg
	.p2align	8
	.type	fft_rtc_back_len128_factors_16_8_wgs_256_tpt_16_dp_op_CI_CI_sbcc_twdbase8_3step_dirReg,@function
fft_rtc_back_len128_factors_16_8_wgs_256_tpt_16_dp_op_CI_CI_sbcc_twdbase8_3step_dirReg: ; @fft_rtc_back_len128_factors_16_8_wgs_256_tpt_16_dp_op_CI_CI_sbcc_twdbase8_3step_dirReg
; %bb.0:
	s_load_dwordx4 s[4:7], s[0:1], 0x18
	s_load_dwordx2 s[34:35], s[0:1], 0x28
	s_mov_b32 s3, 0
	s_mov_b64 s[22:23], 0
	s_waitcnt lgkmcnt(0)
	s_load_dwordx2 s[26:27], s[4:5], 0x8
	s_waitcnt lgkmcnt(0)
	s_add_u32 s8, s26, -1
	s_addc_u32 s9, s27, -1
	s_lshr_b64 s[8:9], s[8:9], 4
	s_add_u32 s30, s8, 1
	s_addc_u32 s31, s9, 0
	v_mov_b64_e32 v[2:3], s[30:31]
	v_cmp_lt_u64_e32 vcc, s[2:3], v[2:3]
	s_cbranch_vccnz .LBB0_2
; %bb.1:
	v_cvt_f32_u32_e32 v1, s30
	s_sub_i32 s8, 0, s30
	s_mov_b32 s23, s3
	v_rcp_iflag_f32_e32 v1, v1
	s_nop 0
	v_mul_f32_e32 v1, 0x4f7ffffe, v1
	v_cvt_u32_f32_e32 v1, v1
	s_nop 0
	v_readfirstlane_b32 s9, v1
	s_mul_i32 s8, s8, s9
	s_mul_hi_u32 s8, s9, s8
	s_add_i32 s9, s9, s8
	s_mul_hi_u32 s8, s2, s9
	s_mul_i32 s10, s8, s30
	s_sub_i32 s10, s2, s10
	s_add_i32 s9, s8, 1
	s_sub_i32 s11, s10, s30
	s_cmp_ge_u32 s10, s30
	s_cselect_b32 s8, s9, s8
	s_cselect_b32 s10, s11, s10
	s_add_i32 s9, s8, 1
	s_cmp_ge_u32 s10, s30
	s_cselect_b32 s22, s9, s8
.LBB0_2:
	s_mul_i32 s28, s22, s31
	s_mul_hi_u32 s29, s22, s30
	s_add_i32 s29, s29, s28
	s_mul_i32 s28, s22, s30
	s_sub_u32 s36, s2, s28
	s_load_dwordx2 s[20:21], s[0:1], 0x68
	s_load_dwordx4 s[16:19], s[6:7], 0x0
	s_load_dwordx4 s[8:11], s[34:35], 0x0
	s_load_dwordx2 s[24:25], s[0:1], 0x0
	s_load_dwordx4 s[12:15], s[0:1], 0x8
	s_subb_u32 s37, 0, s29
	v_mov_b32_e32 v1, s36
	s_lshl_b64 s[28:29], s[36:37], 4
	v_alignbit_b32 v1, s37, v1, 28
	s_waitcnt lgkmcnt(0)
	v_mul_lo_u32 v2, s18, v1
	s_mul_hi_u32 s33, s18, s28
	v_add_u32_e32 v2, s33, v2
	s_mul_i32 s33, s19, s28
	v_add_u32_e32 v3, s33, v2
	s_mul_i32 s33, s18, s28
	v_mov_b32_e32 v2, s33
	v_mul_lo_u32 v1, s10, v1
	s_mul_hi_u32 s33, s10, s28
	v_add_u32_e32 v1, s33, v1
	s_mul_i32 s33, s11, s28
	v_add_u32_e32 v65, s33, v1
	s_mul_i32 s33, s10, s28
	v_cmp_lt_u64_e64 s[36:37], s[14:15], 3
	v_mov_b32_e32 v64, s33
	s_and_b64 vcc, exec, s[36:37]
	s_cbranch_vccnz .LBB0_11
; %bb.3:
	s_add_u32 s36, s34, 16
	s_addc_u32 s37, s35, 0
	s_add_u32 s38, s6, 16
	s_addc_u32 s39, s7, 0
	s_add_u32 s40, s4, 16
	s_addc_u32 s41, s5, 0
	s_mov_b64 s[42:43], 2
	s_mov_b32 s44, 0
	v_mov_b64_e32 v[4:5], s[14:15]
	s_branch .LBB0_5
.LBB0_4:                                ;   in Loop: Header=BB0_5 Depth=1
	s_mul_i32 s31, s46, s31
	s_mul_hi_u32 s33, s46, s30
	s_add_i32 s31, s33, s31
	s_mul_i32 s33, s47, s30
	s_add_i32 s31, s31, s33
	s_mul_i32 s33, s4, s47
	s_mul_hi_u32 s45, s4, s46
	s_load_dwordx2 s[48:49], s[38:39], 0x0
	s_add_i32 s33, s45, s33
	s_mul_i32 s45, s5, s46
	s_add_i32 s33, s33, s45
	s_mul_i32 s45, s4, s46
	s_sub_u32 s45, s22, s45
	s_subb_u32 s33, s23, s33
	s_waitcnt lgkmcnt(0)
	s_mul_i32 s22, s48, s33
	s_mul_hi_u32 s23, s48, s45
	s_mul_i32 s30, s46, s30
	s_add_i32 s46, s23, s22
	s_load_dwordx2 s[22:23], s[36:37], 0x0
	s_mul_i32 s47, s49, s45
	s_add_i32 s47, s46, s47
	s_mul_i32 s46, s48, s45
	v_lshl_add_u64 v[2:3], s[46:47], 0, v[2:3]
	s_waitcnt lgkmcnt(0)
	s_mul_i32 s33, s22, s33
	s_mul_hi_u32 s46, s22, s45
	s_add_i32 s33, s46, s33
	s_mul_i32 s23, s23, s45
	s_add_i32 s23, s33, s23
	s_add_u32 s42, s42, 1
	s_addc_u32 s43, s43, 0
	s_add_u32 s36, s36, 8
	s_addc_u32 s37, s37, 0
	;; [unrolled: 2-line block ×3, first 2 shown]
	s_mul_i32 s22, s22, s45
	s_add_u32 s40, s40, 8
	v_cmp_ge_u64_e32 vcc, s[42:43], v[4:5]
	v_lshl_add_u64 v[64:65], s[22:23], 0, v[64:65]
	s_addc_u32 s41, s41, 0
	s_mov_b64 s[22:23], s[4:5]
	s_cbranch_vccnz .LBB0_9
.LBB0_5:                                ; =>This Inner Loop Header: Depth=1
	s_load_dwordx2 s[46:47], s[40:41], 0x0
	s_waitcnt lgkmcnt(0)
	s_or_b64 s[4:5], s[22:23], s[46:47]
	s_mov_b32 s45, s5
	s_cmp_lg_u64 s[44:45], 0
	s_cbranch_scc0 .LBB0_7
; %bb.6:                                ;   in Loop: Header=BB0_5 Depth=1
	v_cvt_f32_u32_e32 v1, s46
	v_cvt_f32_u32_e32 v6, s47
	s_sub_u32 s4, 0, s46
	s_subb_u32 s5, 0, s47
	v_fmac_f32_e32 v1, 0x4f800000, v6
	v_rcp_f32_e32 v1, v1
	s_nop 0
	v_mul_f32_e32 v1, 0x5f7ffffc, v1
	v_mul_f32_e32 v6, 0x2f800000, v1
	v_trunc_f32_e32 v6, v6
	v_fmac_f32_e32 v1, 0xcf800000, v6
	v_cvt_u32_f32_e32 v6, v6
	v_cvt_u32_f32_e32 v1, v1
	v_readfirstlane_b32 s33, v6
	v_readfirstlane_b32 s45, v1
	s_mul_i32 s48, s4, s33
	s_mul_hi_u32 s50, s4, s45
	s_mul_i32 s49, s5, s45
	s_add_i32 s48, s50, s48
	s_mul_i32 s51, s4, s45
	s_add_i32 s48, s48, s49
	s_mul_hi_u32 s49, s45, s48
	s_mul_i32 s50, s45, s48
	s_mul_hi_u32 s45, s45, s51
	s_add_u32 s45, s45, s50
	s_addc_u32 s49, 0, s49
	s_mul_hi_u32 s52, s33, s51
	s_mul_i32 s51, s33, s51
	s_add_u32 s45, s45, s51
	s_mul_hi_u32 s50, s33, s48
	s_addc_u32 s45, s49, s52
	s_addc_u32 s49, s50, 0
	s_mul_i32 s48, s33, s48
	s_add_u32 s45, s45, s48
	s_addc_u32 s48, 0, s49
	v_add_co_u32_e32 v1, vcc, s45, v1
	s_cmp_lg_u64 vcc, 0
	s_addc_u32 s33, s33, s48
	v_readfirstlane_b32 s48, v1
	s_mul_i32 s45, s4, s33
	s_mul_hi_u32 s49, s4, s48
	s_add_i32 s45, s49, s45
	s_mul_i32 s5, s5, s48
	s_add_i32 s45, s45, s5
	s_mul_i32 s4, s4, s48
	s_mul_hi_u32 s49, s33, s4
	s_mul_i32 s50, s33, s4
	s_mul_i32 s52, s48, s45
	s_mul_hi_u32 s4, s48, s4
	s_mul_hi_u32 s51, s48, s45
	s_add_u32 s4, s4, s52
	s_addc_u32 s48, 0, s51
	s_add_u32 s4, s4, s50
	s_mul_hi_u32 s5, s33, s45
	s_addc_u32 s4, s48, s49
	s_addc_u32 s5, s5, 0
	s_mul_i32 s45, s33, s45
	s_add_u32 s4, s4, s45
	s_addc_u32 s5, 0, s5
	v_add_co_u32_e32 v1, vcc, s4, v1
	s_cmp_lg_u64 vcc, 0
	s_addc_u32 s4, s33, s5
	v_readfirstlane_b32 s45, v1
	s_mul_i32 s33, s22, s4
	s_mul_hi_u32 s48, s22, s45
	s_mul_hi_u32 s5, s22, s4
	s_add_u32 s33, s48, s33
	s_addc_u32 s5, 0, s5
	s_mul_hi_u32 s49, s23, s45
	s_mul_i32 s45, s23, s45
	s_add_u32 s33, s33, s45
	s_mul_hi_u32 s48, s23, s4
	s_addc_u32 s5, s5, s49
	s_addc_u32 s33, s48, 0
	s_mul_i32 s4, s23, s4
	s_add_u32 s45, s5, s4
	s_addc_u32 s33, 0, s33
	s_mul_i32 s4, s46, s33
	s_mul_hi_u32 s5, s46, s45
	s_add_i32 s4, s5, s4
	s_mul_i32 s5, s47, s45
	s_add_i32 s48, s4, s5
	s_mul_i32 s5, s46, s45
	v_mov_b32_e32 v1, s5
	s_sub_i32 s4, s23, s48
	v_sub_co_u32_e32 v1, vcc, s22, v1
	s_cmp_lg_u64 vcc, 0
	s_subb_u32 s49, s4, s47
	v_subrev_co_u32_e64 v6, s[4:5], s46, v1
	s_cmp_lg_u64 s[4:5], 0
	s_subb_u32 s4, s49, 0
	s_cmp_ge_u32 s4, s47
	v_readfirstlane_b32 s49, v6
	s_cselect_b32 s5, -1, 0
	s_cmp_ge_u32 s49, s46
	s_cselect_b32 s49, -1, 0
	s_cmp_eq_u32 s4, s47
	s_cselect_b32 s4, s49, s5
	s_add_u32 s5, s45, 1
	s_addc_u32 s49, s33, 0
	s_add_u32 s50, s45, 2
	s_addc_u32 s51, s33, 0
	s_cmp_lg_u32 s4, 0
	s_cselect_b32 s4, s50, s5
	s_cselect_b32 s5, s51, s49
	s_cmp_lg_u64 vcc, 0
	s_subb_u32 s48, s23, s48
	s_cmp_ge_u32 s48, s47
	v_readfirstlane_b32 s50, v1
	s_cselect_b32 s49, -1, 0
	s_cmp_ge_u32 s50, s46
	s_cselect_b32 s50, -1, 0
	s_cmp_eq_u32 s48, s47
	s_cselect_b32 s48, s50, s49
	s_cmp_lg_u32 s48, 0
	s_cselect_b32 s5, s5, s33
	s_cselect_b32 s4, s4, s45
	s_cbranch_execnz .LBB0_4
	s_branch .LBB0_8
.LBB0_7:                                ;   in Loop: Header=BB0_5 Depth=1
                                        ; implicit-def: $sgpr4_sgpr5
.LBB0_8:                                ;   in Loop: Header=BB0_5 Depth=1
	v_cvt_f32_u32_e32 v1, s46
	s_sub_i32 s4, 0, s46
	v_rcp_iflag_f32_e32 v1, v1
	s_nop 0
	v_mul_f32_e32 v1, 0x4f7ffffe, v1
	v_cvt_u32_f32_e32 v1, v1
	s_nop 0
	v_readfirstlane_b32 s5, v1
	s_mul_i32 s4, s4, s5
	s_mul_hi_u32 s4, s5, s4
	s_add_i32 s5, s5, s4
	s_mul_hi_u32 s4, s22, s5
	s_mul_i32 s33, s4, s46
	s_sub_i32 s33, s22, s33
	s_add_i32 s5, s4, 1
	s_sub_i32 s45, s33, s46
	s_cmp_ge_u32 s33, s46
	s_cselect_b32 s4, s5, s4
	s_cselect_b32 s33, s45, s33
	s_add_i32 s5, s4, 1
	s_cmp_ge_u32 s33, s46
	s_cselect_b32 s4, s5, s4
	s_mov_b32 s5, s44
	s_branch .LBB0_4
.LBB0_9:
	v_mov_b64_e32 v[4:5], s[30:31]
	v_cmp_lt_u64_e32 vcc, s[2:3], v[4:5]
	s_mov_b64 s[22:23], 0
	s_cbranch_vccnz .LBB0_11
; %bb.10:
	v_cvt_f32_u32_e32 v1, s30
	s_sub_i32 s3, 0, s30
	v_rcp_iflag_f32_e32 v1, v1
	s_nop 0
	v_mul_f32_e32 v1, 0x4f7ffffe, v1
	v_cvt_u32_f32_e32 v1, v1
	s_nop 0
	v_readfirstlane_b32 s4, v1
	s_mul_i32 s3, s3, s4
	s_mul_hi_u32 s3, s4, s3
	s_add_i32 s4, s4, s3
	s_mul_hi_u32 s3, s2, s4
	s_mul_i32 s5, s3, s30
	s_sub_i32 s2, s2, s5
	s_add_i32 s4, s3, 1
	s_sub_i32 s5, s2, s30
	s_cmp_ge_u32 s2, s30
	s_cselect_b32 s3, s4, s3
	s_cselect_b32 s2, s5, s2
	s_add_i32 s4, s3, 1
	s_cmp_ge_u32 s2, s30
	s_cselect_b32 s22, s4, s3
.LBB0_11:
	s_load_dwordx2 s[30:31], s[0:1], 0x60
	s_lshl_b64 s[0:1], s[14:15], 3
	s_add_u32 s2, s6, s0
	s_addc_u32 s3, s7, s1
	s_load_dwordx2 s[2:3], s[2:3], 0x0
	v_mov_b64_e32 v[4:5], s[26:27]
	v_lshrrev_b32_e32 v75, 4, v0
	v_and_b32_e32 v74, 15, v0
	v_or_b32_e32 v79, 8, v75
	s_waitcnt lgkmcnt(0)
	s_mul_i32 s3, s3, s22
	s_mul_hi_u32 s4, s2, s22
	s_add_i32 s3, s4, s3
	s_add_u32 s6, s34, s0
	s_addc_u32 s7, s35, s1
	s_add_u32 s0, s28, 16
	s_addc_u32 s1, s29, 0
	s_mul_i32 s2, s2, s22
	v_cmp_le_u64_e32 vcc, s[0:1], v[4:5]
	s_movk_i32 s0, 0x7f
	v_lshl_add_u64 v[2:3], s[2:3], 0, v[2:3]
	v_cmp_lt_u32_e64 s[2:3], s0, v0
	s_movk_i32 s0, 0x80
	v_cmp_gt_u32_e64 s[4:5], s0, v0
	s_and_b64 s[14:15], s[4:5], vcc
	v_lshlrev_b64 v[68:69], 4, v[2:3]
	v_or_b32_e32 v73, 16, v75
	v_or_b32_e32 v78, 24, v75
	;; [unrolled: 1-line block ×7, first 2 shown]
                                        ; implicit-def: $vgpr2_vgpr3
                                        ; implicit-def: $vgpr10_vgpr11
                                        ; implicit-def: $vgpr14_vgpr15
                                        ; implicit-def: $vgpr18_vgpr19
                                        ; implicit-def: $vgpr22_vgpr23
                                        ; implicit-def: $vgpr26_vgpr27
                                        ; implicit-def: $vgpr30_vgpr31
                                        ; implicit-def: $vgpr34_vgpr35
                                        ; implicit-def: $vgpr50_vgpr51
                                        ; implicit-def: $vgpr42_vgpr43
                                        ; implicit-def: $vgpr46_vgpr47
                                        ; implicit-def: $vgpr54_vgpr55
                                        ; implicit-def: $vgpr62_vgpr63
                                        ; implicit-def: $vgpr58_vgpr59
                                        ; implicit-def: $vgpr38_vgpr39
                                        ; implicit-def: $vgpr6_vgpr7
	s_and_saveexec_b64 s[0:1], s[14:15]
	s_cbranch_execz .LBB0_13
; %bb.12:
	v_mad_u64_u32 v[0:1], s[14:15], s18, v74, 0
	v_mov_b32_e32 v2, v1
	v_mad_u64_u32 v[2:3], s[14:15], s19, v74, v[2:3]
	v_mov_b32_e32 v1, v2
	;; [unrolled: 2-line block ×4, first 2 shown]
	v_lshl_add_u64 v[4:5], s[30:31], 0, v[68:69]
	v_lshl_add_u64 v[24:25], v[0:1], 4, v[4:5]
	v_mad_u64_u32 v[0:1], s[14:15], s16, v79, 0
	v_lshl_add_u64 v[8:9], v[2:3], 4, v[24:25]
	v_mov_b32_e32 v2, v1
	v_mad_u64_u32 v[2:3], s[14:15], s17, v79, v[2:3]
	v_mov_b32_e32 v1, v2
	v_lshl_add_u64 v[10:11], v[0:1], 4, v[24:25]
	global_load_dwordx4 v[4:7], v[8:9], off
	global_load_dwordx4 v[0:3], v[10:11], off
	v_mad_u64_u32 v[8:9], s[14:15], s16, v73, 0
	v_mov_b32_e32 v10, v9
	v_mad_u64_u32 v[10:11], s[14:15], s17, v73, v[10:11]
	v_mov_b32_e32 v9, v10
	v_lshl_add_u64 v[16:17], v[8:9], 4, v[24:25]
	v_mad_u64_u32 v[8:9], s[14:15], s16, v78, 0
	v_mov_b32_e32 v10, v9
	v_mad_u64_u32 v[10:11], s[14:15], s17, v78, v[10:11]
	v_mov_b32_e32 v9, v10
	v_lshl_add_u64 v[18:19], v[8:9], 4, v[24:25]
	global_load_dwordx4 v[8:11], v[16:17], off
	global_load_dwordx4 v[12:15], v[18:19], off
	v_mad_u64_u32 v[16:17], s[14:15], s16, v72, 0
	v_mov_b32_e32 v18, v17
	v_mad_u64_u32 v[18:19], s[14:15], s17, v72, v[18:19]
	v_mov_b32_e32 v17, v18
	v_lshl_add_u64 v[26:27], v[16:17], 4, v[24:25]
	v_mad_u64_u32 v[16:17], s[14:15], s16, v77, 0
	v_mov_b32_e32 v18, v17
	v_mad_u64_u32 v[18:19], s[14:15], s17, v77, v[18:19]
	v_mov_b32_e32 v17, v18
	v_mad_u64_u32 v[30:31], s[14:15], s16, v71, 0
	v_lshl_add_u64 v[28:29], v[16:17], 4, v[24:25]
	v_mov_b32_e32 v16, v31
	v_mad_u64_u32 v[16:17], s[14:15], s17, v71, v[16:17]
	v_mad_u64_u32 v[32:33], s[14:15], s16, v76, 0
	v_mov_b32_e32 v31, v16
	v_mov_b32_e32 v16, v33
	v_mad_u64_u32 v[16:17], s[14:15], s17, v76, v[16:17]
	v_mad_u64_u32 v[34:35], s[14:15], s16, v70, 0
	v_mov_b32_e32 v33, v16
	v_mov_b32_e32 v16, v35
	v_mad_u64_u32 v[16:17], s[14:15], s17, v70, v[16:17]
	v_or_b32_e32 v17, 0x48, v75
	v_mad_u64_u32 v[36:37], s[14:15], s16, v17, 0
	v_mov_b32_e32 v35, v16
	v_mov_b32_e32 v16, v37
	v_mad_u64_u32 v[16:17], s[14:15], s17, v17, v[16:17]
	v_or_b32_e32 v17, 0x50, v75
	;; [unrolled: 5-line block ×7, first 2 shown]
	v_mad_u64_u32 v[48:49], s[14:15], s16, v17, 0
	v_mov_b32_e32 v47, v16
	v_mov_b32_e32 v16, v49
	v_mad_u64_u32 v[50:51], s[14:15], s17, v17, v[16:17]
	v_lshl_add_u64 v[66:67], v[30:31], 4, v[24:25]
	v_mov_b32_e32 v49, v50
	global_load_dwordx4 v[16:19], v[26:27], off
	global_load_dwordx4 v[20:23], v[28:29], off
	v_lshl_add_u64 v[80:81], v[32:33], 4, v[24:25]
	v_lshl_add_u64 v[82:83], v[34:35], 4, v[24:25]
	v_lshl_add_u64 v[84:85], v[36:37], 4, v[24:25]
	v_lshl_add_u64 v[86:87], v[38:39], 4, v[24:25]
	v_lshl_add_u64 v[88:89], v[40:41], 4, v[24:25]
	v_lshl_add_u64 v[90:91], v[42:43], 4, v[24:25]
	v_lshl_add_u64 v[92:93], v[44:45], 4, v[24:25]
	v_lshl_add_u64 v[94:95], v[46:47], 4, v[24:25]
	v_lshl_add_u64 v[96:97], v[48:49], 4, v[24:25]
	global_load_dwordx4 v[24:27], v[66:67], off
	global_load_dwordx4 v[28:31], v[80:81], off
	;; [unrolled: 1-line block ×10, first 2 shown]
.LBB0_13:
	s_or_b64 exec, exec, s[0:1]
	v_mov_b32_e32 v67, s29
	v_or_b32_e32 v66, s28, v74
	v_cmp_gt_u64_e64 s[0:1], s[26:27], v[66:67]
	s_xor_b64 s[14:15], vcc, -1
	s_and_b64 s[4:5], s[4:5], s[0:1]
	s_and_b64 s[14:15], s[14:15], s[4:5]
	s_and_saveexec_b64 s[4:5], s[14:15]
	s_cbranch_execz .LBB0_15
; %bb.14:
	s_waitcnt vmcnt(14)
	v_mad_u64_u32 v[0:1], s[14:15], s18, v74, 0
	v_mov_b32_e32 v2, v1
	v_mad_u64_u32 v[2:3], s[14:15], s19, v74, v[2:3]
	v_mov_b32_e32 v1, v2
	;; [unrolled: 2-line block ×4, first 2 shown]
	v_lshl_add_u64 v[4:5], s[30:31], 0, v[68:69]
	s_waitcnt vmcnt(0)
	v_lshl_add_u64 v[56:57], v[0:1], 4, v[4:5]
	v_mad_u64_u32 v[0:1], s[14:15], s16, v79, 0
	v_lshl_add_u64 v[8:9], v[2:3], 4, v[56:57]
	v_mov_b32_e32 v2, v1
	v_mad_u64_u32 v[2:3], s[14:15], s17, v79, v[2:3]
	v_mov_b32_e32 v1, v2
	v_lshl_add_u64 v[10:11], v[0:1], 4, v[56:57]
	global_load_dwordx4 v[4:7], v[8:9], off
	global_load_dwordx4 v[0:3], v[10:11], off
	v_mad_u64_u32 v[8:9], s[14:15], s16, v73, 0
	v_mov_b32_e32 v10, v9
	v_mad_u64_u32 v[10:11], s[14:15], s17, v73, v[10:11]
	v_mov_b32_e32 v9, v10
	v_lshl_add_u64 v[16:17], v[8:9], 4, v[56:57]
	v_mad_u64_u32 v[8:9], s[14:15], s16, v78, 0
	v_mov_b32_e32 v10, v9
	v_mad_u64_u32 v[10:11], s[14:15], s17, v78, v[10:11]
	v_mov_b32_e32 v9, v10
	v_lshl_add_u64 v[18:19], v[8:9], 4, v[56:57]
	global_load_dwordx4 v[8:11], v[16:17], off
	global_load_dwordx4 v[12:15], v[18:19], off
	v_mad_u64_u32 v[16:17], s[14:15], s16, v72, 0
	v_mov_b32_e32 v18, v17
	v_mad_u64_u32 v[18:19], s[14:15], s17, v72, v[18:19]
	v_mov_b32_e32 v17, v18
	v_lshl_add_u64 v[24:25], v[16:17], 4, v[56:57]
	v_mad_u64_u32 v[16:17], s[14:15], s16, v77, 0
	;; [unrolled: 12-line block ×3, first 2 shown]
	v_mov_b32_e32 v26, v25
	v_mad_u64_u32 v[26:27], s[14:15], s17, v76, v[26:27]
	v_mov_b32_e32 v25, v26
	v_lshl_add_u64 v[34:35], v[24:25], 4, v[56:57]
	global_load_dwordx4 v[24:27], v[32:33], off
	global_load_dwordx4 v[28:31], v[34:35], off
	v_mad_u64_u32 v[32:33], s[14:15], s16, v70, 0
	v_mov_b32_e32 v34, v33
	v_mad_u64_u32 v[34:35], s[14:15], s17, v70, v[34:35]
	v_mov_b32_e32 v33, v34
	v_or_b32_e32 v35, 0x48, v75
	v_lshl_add_u64 v[40:41], v[32:33], 4, v[56:57]
	v_mad_u64_u32 v[32:33], s[14:15], s16, v35, 0
	v_mov_b32_e32 v34, v33
	v_mad_u64_u32 v[34:35], s[14:15], s17, v35, v[34:35]
	v_mov_b32_e32 v33, v34
	v_lshl_add_u64 v[42:43], v[32:33], 4, v[56:57]
	global_load_dwordx4 v[32:35], v[40:41], off
	global_load_dwordx4 v[36:39], v[42:43], off
	v_or_b32_e32 v43, 0x50, v75
	v_mad_u64_u32 v[40:41], s[14:15], s16, v43, 0
	v_mov_b32_e32 v42, v41
	v_mad_u64_u32 v[42:43], s[14:15], s17, v43, v[42:43]
	v_mov_b32_e32 v41, v42
	v_or_b32_e32 v43, 0x58, v75
	v_lshl_add_u64 v[44:45], v[40:41], 4, v[56:57]
	v_mad_u64_u32 v[40:41], s[14:15], s16, v43, 0
	v_mov_b32_e32 v42, v41
	v_mad_u64_u32 v[42:43], s[14:15], s17, v43, v[42:43]
	v_mov_b32_e32 v41, v42
	v_lshl_add_u64 v[46:47], v[40:41], 4, v[56:57]
	global_load_dwordx4 v[48:51], v[44:45], off
	global_load_dwordx4 v[40:43], v[46:47], off
	v_or_b32_e32 v47, 0x60, v75
	;; [unrolled: 14-line block ×3, first 2 shown]
	v_mad_u64_u32 v[58:59], s[14:15], s16, v61, 0
	v_mov_b32_e32 v60, v59
	v_mad_u64_u32 v[60:61], s[14:15], s17, v61, v[60:61]
	v_mov_b32_e32 v59, v60
	v_or_b32_e32 v61, 0x78, v75
	v_lshl_add_u64 v[68:69], v[58:59], 4, v[56:57]
	v_mad_u64_u32 v[58:59], s[14:15], s16, v61, 0
	v_mov_b32_e32 v60, v59
	v_mad_u64_u32 v[60:61], s[14:15], s17, v61, v[60:61]
	v_mov_b32_e32 v59, v60
	v_lshl_add_u64 v[76:77], v[58:59], 4, v[56:57]
	global_load_dwordx4 v[60:63], v[68:69], off
	global_load_dwordx4 v[56:59], v[76:77], off
.LBB0_15:
	s_or_b64 exec, exec, s[4:5]
	v_lshlrev_b32_e32 v67, 8, v75
	s_and_saveexec_b64 s[4:5], s[2:3]
	s_xor_b64 s[2:3], exec, s[4:5]
; %bb.16:
	v_lshlrev_b32_e32 v67, 8, v75
                                        ; implicit-def: $vgpr2_vgpr3
                                        ; implicit-def: $vgpr10_vgpr11
                                        ; implicit-def: $vgpr14_vgpr15
                                        ; implicit-def: $vgpr18_vgpr19
                                        ; implicit-def: $vgpr22_vgpr23
                                        ; implicit-def: $vgpr26_vgpr27
                                        ; implicit-def: $vgpr30_vgpr31
                                        ; implicit-def: $vgpr34_vgpr35
                                        ; implicit-def: $vgpr50_vgpr51
                                        ; implicit-def: $vgpr42_vgpr43
                                        ; implicit-def: $vgpr46_vgpr47
                                        ; implicit-def: $vgpr54_vgpr55
                                        ; implicit-def: $vgpr62_vgpr63
                                        ; implicit-def: $vgpr58_vgpr59
                                        ; implicit-def: $vgpr38_vgpr39
                                        ; implicit-def: $vgpr6_vgpr7
; %bb.17:
	s_or_saveexec_b64 s[2:3], s[2:3]
	v_lshlrev_b32_e32 v68, 4, v74
	s_xor_b64 exec, exec, s[2:3]
	s_cbranch_execz .LBB0_19
; %bb.18:
	s_waitcnt vmcnt(5)
	v_add_f64 v[50:51], v[10:11], -v[50:51]
	s_waitcnt vmcnt(1)
	v_add_f64 v[60:61], v[24:25], -v[60:61]
	v_add_f64 v[40:41], v[12:13], -v[40:41]
	s_waitcnt vmcnt(0)
	v_add_f64 v[58:59], v[30:31], -v[58:59]
	v_add_f64 v[36:37], v[0:1], -v[36:37]
	;; [unrolled: 1-line block ×3, first 2 shown]
	v_fma_f64 v[24:25], v[24:25], 2.0, -v[60:61]
	v_add_f64 v[60:61], v[50:51], -v[60:61]
	s_mov_b32 s4, 0x667f3bcd
	v_add_f64 v[42:43], v[14:15], -v[42:43]
	v_add_f64 v[56:57], v[28:29], -v[56:57]
	;; [unrolled: 1-line block ×8, first 2 shown]
	s_mov_b32 s5, 0x3fe6a09e
	v_fma_f64 v[78:79], v[0:1], 2.0, -v[36:37]
	v_fma_f64 v[86:87], v[10:11], 2.0, -v[50:51]
	;; [unrolled: 1-line block ×3, first 2 shown]
	v_add_f64 v[10:11], v[40:41], v[58:59]
	v_add_f64 v[50:51], v[54:55], v[36:37]
	v_add_f64 v[48:49], v[8:9], -v[48:49]
	v_add_f64 v[62:63], v[26:27], -v[62:63]
	v_fma_f64 v[20:21], v[20:21], 2.0, -v[52:53]
	v_add_f64 v[76:77], v[34:35], -v[44:45]
	v_fma_f64 v[16:17], v[16:17], 2.0, -v[44:45]
	v_fma_f64 v[18:19], v[18:19], 2.0, -v[46:47]
	v_add_f64 v[44:45], v[46:47], v[32:33]
	v_fma_f64 v[46:47], v[2:3], 2.0, -v[38:39]
	v_fma_f64 v[80:81], v[6:7], 2.0, -v[34:35]
	v_add_f64 v[6:7], v[38:39], -v[52:53]
	v_add_f64 v[2:3], v[42:43], -v[56:57]
	v_fma_f64 v[52:53], s[4:5], v[10:11], v[50:51]
	v_fma_f64 v[22:23], v[22:23], 2.0, -v[54:55]
	v_fma_f64 v[26:27], v[26:27], 2.0, -v[62:63]
	v_add_f64 v[62:63], v[48:49], v[62:63]
	v_fma_f64 v[14:15], v[14:15], 2.0, -v[42:43]
	s_mov_b32 s17, 0xbfe6a09e
	s_mov_b32 s16, s4
	v_fmac_f64_e32 v[52:53], s[4:5], v[2:3]
	v_fma_f64 v[42:43], v[42:43], 2.0, -v[2:3]
	v_fma_f64 v[54:55], s[4:5], v[2:3], v[6:7]
	v_fma_f64 v[2:3], v[40:41], 2.0, -v[10:11]
	v_fma_f64 v[36:37], v[36:37], 2.0, -v[50:51]
	;; [unrolled: 1-line block ×5, first 2 shown]
	v_fma_f64 v[8:9], s[4:5], v[62:63], v[44:45]
	v_fma_f64 v[56:57], v[34:35], 2.0, -v[76:77]
	v_fma_f64 v[38:39], v[38:39], 2.0, -v[6:7]
	v_fma_f64 v[58:59], s[16:17], v[2:3], v[36:37]
	v_fma_f64 v[12:13], v[12:13], 2.0, -v[40:41]
	v_fma_f64 v[82:83], v[4:5], 2.0, -v[32:33]
	v_fmac_f64_e32 v[8:9], s[4:5], v[60:61]
	v_fma_f64 v[4:5], s[4:5], v[60:61], v[76:77]
	v_fma_f64 v[48:49], v[48:49], 2.0, -v[62:63]
	s_mov_b32 s18, 0xcf328d46
	v_fma_f64 v[40:41], s[16:17], v[42:43], v[38:39]
	v_fmac_f64_e32 v[58:59], s[4:5], v[42:43]
	v_fma_f64 v[42:43], s[16:17], v[0:1], v[56:57]
	v_fma_f64 v[60:61], v[32:33], 2.0, -v[44:45]
	v_fmac_f64_e32 v[4:5], s[16:17], v[62:63]
	v_fmac_f64_e32 v[54:55], s[16:17], v[10:11]
	s_mov_b32 s19, 0x3fed906b
	s_mov_b32 s14, 0xa6aea964
	v_fmac_f64_e32 v[42:43], s[16:17], v[48:49]
	v_fma_f64 v[48:49], s[16:17], v[48:49], v[60:61]
	s_mov_b32 s15, 0xbfd87de2
	v_fmac_f64_e32 v[40:41], s[16:17], v[2:3]
	v_fmac_f64_e32 v[48:49], s[4:5], v[0:1]
	v_fma_f64 v[2:3], s[18:19], v[54:55], v[4:5]
	v_fma_f64 v[0:1], s[18:19], v[52:53], v[8:9]
	s_mov_b32 s27, 0x3fd87de2
	s_mov_b32 s26, s14
	v_fma_f64 v[32:33], v[6:7], 2.0, -v[54:55]
	v_fma_f64 v[34:35], v[76:77], 2.0, -v[4:5]
	v_fmac_f64_e32 v[0:1], s[26:27], v[54:55]
	v_fmac_f64_e32 v[2:3], s[14:15], v[52:53]
	v_fma_f64 v[50:51], v[50:51], 2.0, -v[52:53]
	s_mov_b32 s29, 0xbfed906b
	s_mov_b32 s28, s18
	v_fma_f64 v[44:45], v[44:45], 2.0, -v[8:9]
	v_fma_f64 v[10:11], s[14:15], v[32:33], v[34:35]
	v_fma_f64 v[6:7], v[4:5], 2.0, -v[2:3]
	v_fma_f64 v[4:5], v[8:9], 2.0, -v[0:1]
	v_fmac_f64_e32 v[10:11], s[28:29], v[50:51]
	v_fma_f64 v[8:9], s[14:15], v[50:51], v[44:45]
	v_add_f64 v[50:51], v[80:81], -v[18:19]
	v_add_f64 v[18:19], v[84:85], -v[24:25]
	v_fma_f64 v[52:53], v[84:85], 2.0, -v[18:19]
	v_add_f64 v[24:25], v[50:51], -v[18:19]
	v_add_f64 v[18:19], v[12:13], -v[28:29]
	v_fma_f64 v[54:55], v[12:13], 2.0, -v[18:19]
	v_add_f64 v[20:21], v[78:79], -v[20:21]
	v_add_f64 v[12:13], v[14:15], -v[30:31]
	;; [unrolled: 1-line block ×3, first 2 shown]
	v_fma_f64 v[62:63], v[14:15], 2.0, -v[12:13]
	v_add_f64 v[30:31], v[12:13], v[20:21]
	v_add_f64 v[76:77], v[82:83], -v[16:17]
	v_add_f64 v[12:13], v[86:87], -v[26:27]
	;; [unrolled: 1-line block ×3, first 2 shown]
	v_add_f64 v[26:27], v[12:13], v[76:77]
	v_fma_f64 v[18:19], s[4:5], v[28:29], v[24:25]
	v_fma_f64 v[16:17], s[4:5], v[30:31], v[26:27]
	v_fmac_f64_e32 v[8:9], s[18:19], v[32:33]
	v_fma_f64 v[14:15], v[34:35], 2.0, -v[10:11]
	v_fmac_f64_e32 v[16:17], s[4:5], v[28:29]
	v_fma_f64 v[28:29], v[22:23], 2.0, -v[28:29]
	;; [unrolled: 2-line block ×3, first 2 shown]
	v_fma_f64 v[30:31], v[20:21], 2.0, -v[30:31]
	v_fma_f64 v[34:35], v[76:77], 2.0, -v[26:27]
	;; [unrolled: 1-line block ×7, first 2 shown]
	v_fma_f64 v[26:27], s[16:17], v[28:29], v[32:33]
	v_fma_f64 v[24:25], s[16:17], v[30:31], v[34:35]
	v_fmac_f64_e32 v[26:27], s[16:17], v[30:31]
	v_fmac_f64_e32 v[24:25], s[4:5], v[28:29]
	v_fma_f64 v[30:31], v[32:33], 2.0, -v[26:27]
	v_fma_f64 v[28:29], v[34:35], 2.0, -v[24:25]
	v_fma_f64 v[34:35], s[26:27], v[40:41], v[42:43]
	v_fma_f64 v[32:33], s[26:27], v[58:59], v[48:49]
	v_fma_f64 v[12:13], v[44:45], 2.0, -v[8:9]
	v_fmac_f64_e32 v[32:33], s[18:19], v[40:41]
	v_fma_f64 v[44:45], v[38:39], 2.0, -v[40:41]
	v_fmac_f64_e32 v[34:35], s[28:29], v[58:59]
	v_fma_f64 v[46:47], v[56:57], 2.0, -v[42:43]
	v_fma_f64 v[40:41], v[36:37], 2.0, -v[58:59]
	;; [unrolled: 1-line block ×5, first 2 shown]
	v_fma_f64 v[42:43], s[28:29], v[44:45], v[46:47]
	v_fma_f64 v[80:81], v[80:81], 2.0, -v[50:51]
	v_fma_f64 v[82:83], v[82:83], 2.0, -v[76:77]
	v_fmac_f64_e32 v[42:43], s[14:15], v[40:41]
	v_fma_f64 v[40:41], s[28:29], v[40:41], v[48:49]
	v_add_f64 v[56:57], v[80:81], -v[84:85]
	v_add_f64 v[58:59], v[78:79], -v[54:55]
	;; [unrolled: 1-line block ×4, first 2 shown]
	v_fmac_f64_e32 v[40:41], s[26:27], v[44:45]
	v_fma_f64 v[44:45], v[48:49], 2.0, -v[40:41]
	v_fma_f64 v[62:63], v[86:87], 2.0, -v[50:51]
	v_add_f64 v[48:49], v[50:51], v[60:61]
	v_add_f64 v[50:51], v[56:57], -v[58:59]
	v_fma_f64 v[76:77], v[80:81], 2.0, -v[56:57]
	v_fma_f64 v[54:55], v[56:57], 2.0, -v[50:51]
	;; [unrolled: 1-line block ×5, first 2 shown]
	v_add_f64 v[58:59], v[76:77], -v[62:63]
	v_add_f64 v[56:57], v[60:61], -v[56:57]
	v_lshlrev_b32_e32 v69, 12, v75
	v_fma_f64 v[62:63], v[76:77], 2.0, -v[58:59]
	v_fma_f64 v[60:61], v[60:61], 2.0, -v[56:57]
	v_add3_u32 v69, 0, v69, v68
	v_fma_f64 v[46:47], v[46:47], 2.0, -v[42:43]
	ds_write_b128 v69, v[60:63]
	ds_write_b128 v69, v[44:47] offset:256
	ds_write_b128 v69, v[28:31] offset:512
	;; [unrolled: 1-line block ×15, first 2 shown]
.LBB0_19:
	s_or_b64 exec, exec, s[2:3]
	s_or_b64 s[0:1], vcc, s[0:1]
	s_waitcnt lgkmcnt(0)
	s_barrier
	s_and_saveexec_b64 s[2:3], s[0:1]
	s_cbranch_execz .LBB0_21
; %bb.20:
	s_waitcnt vmcnt(14)
	v_mul_u32_u24_e32 v0, 7, v75
	s_waitcnt vmcnt(8)
	v_lshlrev_b32_e32 v28, 4, v0
	s_waitcnt vmcnt(4)
	v_or_b32_e32 v40, 0x70, v75
	global_load_dwordx4 v[0:3], v28, s[24:25]
	global_load_dwordx4 v[12:15], v28, s[24:25] offset:64
	global_load_dwordx4 v[16:19], v28, s[24:25] offset:32
	;; [unrolled: 1-line block ×6, first 2 shown]
	v_mul_lo_u32 v36, v66, v40
	v_mov_b32_e32 v43, 0x1000
	v_bfe_u32 v28, v36, 8, 8
	v_mov_b32_e32 v42, 4
	v_lshl_or_b32 v38, v28, 4, v43
	v_lshlrev_b32_sdwa v37, v42, v36 dst_sel:DWORD dst_unused:UNUSED_PAD src0_sel:DWORD src1_sel:BYTE_0
	global_load_dwordx4 v[28:31], v38, s[12:13]
	global_load_dwordx4 v[32:35], v37, s[12:13]
	s_waitcnt vmcnt(12)
	v_mov_b32_e32 v44, 0x2000
	v_bfe_u32 v36, v36, 16, 8
	v_lshl_or_b32 v36, v36, 4, v44
	global_load_dwordx4 v[36:39], v36, s[12:13]
	v_or_b32_e32 v41, 0x60, v75
	v_add3_u32 v45, 0, v67, v68
	v_mul_lo_u32 v67, v66, v41
	s_waitcnt vmcnt(11)
	v_lshlrev_b32_sdwa v62, v42, v67 dst_sel:DWORD dst_unused:UNUSED_PAD src0_sel:DWORD src1_sel:BYTE_0
	v_bfe_u32 v54, v67, 8, 8
	ds_read_b128 v[46:49], v45
	ds_read_b128 v[50:53], v45 offset:4096
	v_lshl_or_b32 v63, v54, 4, v43
	global_load_dwordx4 v[54:57], v62, s[12:13]
	global_load_dwordx4 v[58:61], v63, s[12:13]
	ds_read_b128 v[76:79], v45 offset:16384
	ds_read_b128 v[80:83], v45 offset:20480
	s_mov_b32 s0, 0x667f3bcd
	s_mov_b32 s1, 0x3fe6a09e
	s_mov_b32 s3, 0xbfe6a09e
	s_mov_b32 s2, s0
	s_waitcnt vmcnt(11) lgkmcnt(2)
	v_mul_f64 v[62:63], v[50:51], v[2:3]
	v_mul_f64 v[68:69], v[52:53], v[2:3]
	v_fma_f64 v[62:63], v[52:53], v[0:1], -v[62:63]
	v_fmac_f64_e32 v[68:69], v[50:51], v[0:1]
	ds_read_b128 v[0:3], v45 offset:8192
	ds_read_b128 v[50:53], v45 offset:12288
	s_waitcnt vmcnt(10) lgkmcnt(2)
	v_mul_f64 v[84:85], v[80:81], v[14:15]
	v_mul_f64 v[86:87], v[82:83], v[14:15]
	v_fma_f64 v[84:85], v[82:83], v[12:13], -v[84:85]
	v_fmac_f64_e32 v[86:87], v[80:81], v[12:13]
	ds_read_b128 v[12:15], v45 offset:24576
	ds_read_b128 v[80:83], v45 offset:28672
	s_waitcnt vmcnt(9) lgkmcnt(2)
	v_mul_f64 v[88:89], v[52:53], v[18:19]
	v_mul_f64 v[18:19], v[50:51], v[18:19]
	v_fmac_f64_e32 v[88:89], v[50:51], v[16:17]
	v_fma_f64 v[90:91], v[52:53], v[16:17], -v[18:19]
	s_waitcnt vmcnt(8) lgkmcnt(0)
	v_mul_f64 v[16:17], v[82:83], v[22:23]
	v_mul_f64 v[18:19], v[80:81], v[22:23]
	v_fmac_f64_e32 v[16:17], v[80:81], v[20:21]
	s_waitcnt vmcnt(6)
	v_mul_f64 v[80:81], v[2:3], v[10:11]
	v_bfe_u32 v45, v67, 16, 8
	v_mul_f64 v[10:11], v[0:1], v[10:11]
	v_fmac_f64_e32 v[80:81], v[0:1], v[8:9]
	s_waitcnt vmcnt(3)
	v_mul_f64 v[0:1], v[34:35], v[30:31]
	v_mul_f64 v[30:31], v[32:33], v[30:31]
	v_lshl_or_b32 v45, v45, 4, v44
	v_fma_f64 v[18:19], v[82:83], v[20:21], -v[18:19]
	v_mul_f64 v[20:21], v[76:77], v[26:27]
	v_mul_f64 v[26:27], v[78:79], v[26:27]
	v_fmac_f64_e32 v[30:31], v[34:35], v[28:29]
	global_load_dwordx4 v[50:53], v45, s[12:13]
	v_fma_f64 v[20:21], v[78:79], v[24:25], -v[20:21]
	v_fmac_f64_e32 v[26:27], v[76:77], v[24:25]
	v_add_f64 v[24:25], v[88:89], -v[16:17]
	v_fma_f64 v[0:1], v[32:33], v[28:29], -v[0:1]
	s_waitcnt vmcnt(3)
	v_mul_f64 v[16:17], v[30:31], v[38:39]
	v_or_b32_e32 v45, 0x50, v75
	v_mul_f64 v[22:23], v[14:15], v[6:7]
	v_add_f64 v[92:93], v[46:47], -v[26:27]
	v_fma_f64 v[26:27], v[36:37], v[0:1], -v[16:17]
	v_fma_f64 v[28:29], v[2:3], v[8:9], -v[10:11]
	v_mul_f64 v[2:3], v[12:13], v[6:7]
	v_mul_f64 v[0:1], v[0:1], v[38:39]
	v_mul_lo_u32 v6, v66, v45
	v_fmac_f64_e32 v[22:23], v[12:13], v[4:5]
	v_fma_f64 v[2:3], v[14:15], v[4:5], -v[2:3]
	v_fmac_f64_e32 v[0:1], v[36:37], v[30:31]
	v_bfe_u32 v7, v6, 16, 8
	v_lshlrev_b32_sdwa v30, v42, v6 dst_sel:DWORD dst_unused:UNUSED_PAD src0_sel:DWORD src1_sel:BYTE_0
	v_bfe_u32 v6, v6, 8, 8
	v_add_f64 v[76:77], v[48:49], -v[20:21]
	v_add_f64 v[78:79], v[80:81], -v[22:23]
	;; [unrolled: 1-line block ×6, first 2 shown]
	v_lshl_or_b32 v7, v7, 4, v44
	v_lshl_or_b32 v6, v6, 4, v43
	v_add_f64 v[20:21], v[76:77], -v[78:79]
	v_add_f64 v[34:35], v[82:83], -v[24:25]
	v_add_f64 v[94:95], v[84:85], v[86:87]
	v_add_f64 v[16:17], v[92:93], v[4:5]
	global_load_dwordx4 v[8:11], v7, s[12:13]
	global_load_dwordx4 v[12:15], v30, s[12:13]
	;; [unrolled: 1-line block ×3, first 2 shown]
	v_fma_f64 v[22:23], s[0:1], v[34:35], v[20:21]
	v_fma_f64 v[18:19], s[0:1], v[94:95], v[16:17]
	v_fmac_f64_e32 v[22:23], s[2:3], v[94:95]
	v_fmac_f64_e32 v[18:19], s[0:1], v[34:35]
	v_mul_f64 v[2:3], v[18:19], v[0:1]
	v_mul_f64 v[0:1], v[22:23], v[0:1]
	v_mul_lo_u32 v67, v66, v70
	v_fma_f64 v[2:3], v[22:23], v[26:27], -v[2:3]
	v_fmac_f64_e32 v[0:1], v[18:19], v[26:27]
	s_waitcnt vmcnt(4)
	v_mul_f64 v[6:7], v[56:57], v[60:61]
	v_mul_f64 v[32:33], v[54:55], v[60:61]
	v_lshlrev_b32_sdwa v26, v42, v67 dst_sel:DWORD dst_unused:UNUSED_PAD src0_sel:DWORD src1_sel:BYTE_0
	v_bfe_u32 v27, v67, 8, 8
	v_fma_f64 v[6:7], v[54:55], v[58:59], -v[6:7]
	v_fmac_f64_e32 v[32:33], v[56:57], v[58:59]
	v_lshl_or_b32 v27, v27, 4, v43
	global_load_dwordx4 v[54:57], v26, s[12:13]
	global_load_dwordx4 v[58:61], v27, s[12:13]
	v_fma_f64 v[4:5], v[28:29], 2.0, -v[4:5]
	v_fma_f64 v[26:27], v[88:89], 2.0, -v[24:25]
	;; [unrolled: 1-line block ×3, first 2 shown]
	v_add_f64 v[24:25], v[88:89], -v[4:5]
	v_fma_f64 v[98:99], v[46:47], 2.0, -v[92:93]
	v_fma_f64 v[4:5], v[80:81], 2.0, -v[78:79]
	;; [unrolled: 1-line block ×4, first 2 shown]
	v_add_f64 v[96:97], v[68:69], -v[26:27]
	v_add_f64 v[26:27], v[24:25], -v[96:97]
	v_fma_f64 v[100:101], v[16:17], 2.0, -v[18:19]
	s_waitcnt vmcnt(5)
	v_mul_f64 v[28:29], v[32:33], v[52:53]
	v_fma_f64 v[46:47], v[50:51], v[6:7], -v[28:29]
	v_add_f64 v[28:29], v[98:99], -v[4:5]
	v_fma_f64 v[4:5], v[90:91], 2.0, -v[86:87]
	v_add_f64 v[80:81], v[62:63], -v[4:5]
	v_mul_f64 v[4:5], v[6:7], v[52:53]
	v_fmac_f64_e32 v[4:5], v[50:51], v[32:33]
	v_fma_f64 v[32:33], v[76:77], 2.0, -v[20:21]
	v_add_f64 v[30:31], v[28:29], v[80:81]
	v_mul_f64 v[6:7], v[30:31], v[4:5]
	v_mul_f64 v[4:5], v[26:27], v[4:5]
	v_fma_f64 v[52:53], v[84:85], 2.0, -v[94:95]
	v_fma_f64 v[6:7], v[26:27], v[46:47], -v[6:7]
	v_fmac_f64_e32 v[4:5], v[30:31], v[46:47]
	v_fma_f64 v[50:51], v[82:83], 2.0, -v[34:35]
	v_bfe_u32 v46, v67, 16, 8
	v_fma_f64 v[34:35], s[2:3], v[50:51], v[32:33]
	v_lshl_or_b32 v46, v46, 4, v44
	global_load_dwordx4 v[46:49], v46, s[12:13]
	v_mul_lo_u32 v67, v66, v71
	v_fmac_f64_e32 v[34:35], s[2:3], v[52:53]
	v_mul_lo_u32 v94, v66, v72
	v_lshlrev_b32_sdwa v82, v42, v94 dst_sel:DWORD dst_unused:UNUSED_PAD src0_sel:DWORD src1_sel:BYTE_0
	v_fma_f64 v[90:91], v[98:99], 2.0, -v[28:29]
	v_fma_f64 v[28:29], v[28:29], 2.0, -v[30:31]
	s_waitcnt vmcnt(3)
	v_mul_f64 v[76:77], v[14:15], v[38:39]
	v_fma_f64 v[76:77], v[12:13], v[36:37], -v[76:77]
	v_mul_f64 v[12:13], v[12:13], v[38:39]
	v_fmac_f64_e32 v[12:13], v[14:15], v[36:37]
	v_fma_f64 v[36:37], v[92:93], 2.0, -v[16:17]
	v_fma_f64 v[38:39], s[2:3], v[52:53], v[36:37]
	v_fmac_f64_e32 v[38:39], s[0:1], v[50:51]
	v_mul_f64 v[50:51], v[76:77], v[10:11]
	v_mul_f64 v[14:15], v[12:13], v[10:11]
	v_fmac_f64_e32 v[50:51], v[8:9], v[12:13]
	v_fma_f64 v[14:15], v[8:9], v[76:77], -v[14:15]
	v_mul_f64 v[8:9], v[38:39], v[50:51]
	v_fma_f64 v[10:11], v[34:35], v[14:15], -v[8:9]
	v_mul_f64 v[8:9], v[34:35], v[50:51]
	v_lshlrev_b32_sdwa v50, v42, v67 dst_sel:DWORD dst_unused:UNUSED_PAD src0_sel:DWORD src1_sel:BYTE_0
	global_load_dwordx4 v[50:53], v50, s[12:13]
	v_fmac_f64_e32 v[8:9], v[38:39], v[14:15]
	s_waitcnt vmcnt(2)
	v_mul_f64 v[12:13], v[56:57], v[60:61]
	v_fma_f64 v[12:13], v[54:55], v[58:59], -v[12:13]
	v_mul_f64 v[84:85], v[54:55], v[60:61]
	v_bfe_u32 v54, v67, 8, 8
	v_lshl_or_b32 v54, v54, 4, v43
	v_fmac_f64_e32 v[84:85], v[56:57], v[58:59]
	global_load_dwordx4 v[54:57], v54, s[12:13]
	v_bfe_u32 v58, v94, 8, 8
	v_lshl_or_b32 v83, v58, 4, v43
	global_load_dwordx4 v[58:61], v82, s[12:13]
	global_load_dwordx4 v[76:79], v83, s[12:13]
	v_fma_f64 v[14:15], v[62:63], 2.0, -v[80:81]
	v_bfe_u32 v62, v67, 16, 8
	v_lshl_or_b32 v62, v62, 4, v44
	global_load_dwordx4 v[80:83], v62, s[12:13]
	v_fma_f64 v[62:63], v[88:89], 2.0, -v[24:25]
	v_add_f64 v[86:87], v[62:63], -v[14:15]
	v_fma_f64 v[14:15], v[68:69], 2.0, -v[96:97]
	v_fma_f64 v[24:25], v[24:25], 2.0, -v[26:27]
	v_add_f64 v[92:93], v[90:91], -v[14:15]
	s_waitcnt vmcnt(5)
	v_mul_f64 v[68:69], v[84:85], v[48:49]
	v_fma_f64 v[88:89], v[46:47], v[12:13], -v[68:69]
	v_fma_f64 v[68:69], v[20:21], 2.0, -v[22:23]
	v_bfe_u32 v20, v94, 16, 8
	v_mul_f64 v[12:13], v[12:13], v[48:49]
	v_lshl_or_b32 v20, v20, 4, v44
	v_fmac_f64_e32 v[12:13], v[46:47], v[84:85]
	global_load_dwordx4 v[20:23], v20, s[12:13]
	v_mul_f64 v[14:15], v[92:93], v[12:13]
	v_mul_f64 v[12:13], v[86:87], v[12:13]
	v_fma_f64 v[14:15], v[86:87], v[88:89], -v[14:15]
	v_fmac_f64_e32 v[12:13], v[92:93], v[88:89]
	s_waitcnt vmcnt(4)
	v_mul_f64 v[46:47], v[52:53], v[56:57]
	v_mul_f64 v[94:95], v[50:51], v[56:57]
	v_fma_f64 v[84:85], v[50:51], v[54:55], -v[46:47]
	v_fmac_f64_e32 v[94:95], v[52:53], v[54:55]
	s_waitcnt vmcnt(2)
	v_mul_f64 v[46:47], v[60:61], v[78:79]
	v_mul_lo_u32 v54, v66, v73
	v_fma_f64 v[96:97], v[58:59], v[76:77], -v[46:47]
	v_bfe_u32 v46, v54, 16, 8
	v_lshlrev_b32_sdwa v56, v42, v54 dst_sel:DWORD dst_unused:UNUSED_PAD src0_sel:DWORD src1_sel:BYTE_0
	v_bfe_u32 v54, v54, 8, 8
	v_lshl_or_b32 v55, v46, 4, v44
	v_lshl_or_b32 v54, v54, 4, v43
	global_load_dwordx4 v[46:49], v55, s[12:13]
	global_load_dwordx4 v[50:53], v56, s[12:13]
	s_waitcnt vmcnt(3)
	v_mul_f64 v[16:17], v[94:95], v[82:83]
	global_load_dwordx4 v[54:57], v54, s[12:13]
	v_mul_f64 v[98:99], v[58:59], v[78:79]
	v_fma_f64 v[102:103], v[80:81], v[84:85], -v[16:17]
	v_mul_f64 v[16:17], v[84:85], v[82:83]
	v_fmac_f64_e32 v[98:99], v[60:61], v[76:77]
	v_fmac_f64_e32 v[16:17], v[80:81], v[94:95]
	v_mul_lo_u32 v76, v66, v75
	v_mul_f64 v[18:19], v[100:101], v[16:17]
	v_lshlrev_b32_sdwa v42, v42, v76 dst_sel:DWORD dst_unused:UNUSED_PAD src0_sel:DWORD src1_sel:BYTE_0
	v_bfe_u32 v58, v76, 8, 8
	v_fma_f64 v[18:19], v[68:69], v[102:103], -v[18:19]
	v_mul_f64 v[16:17], v[68:69], v[16:17]
	v_lshl_or_b32 v43, v58, 4, v43
	global_load_dwordx4 v[58:61], v42, s[12:13]
	global_load_dwordx4 v[66:69], v43, s[12:13]
	v_bfe_u32 v42, v76, 16, 8
	v_lshl_or_b32 v42, v42, 4, v44
	global_load_dwordx4 v[76:79], v42, s[12:13]
	s_load_dwordx2 s[0:1], s[6:7], 0x0
	v_fmac_f64_e32 v[16:17], v[100:101], v[102:103]
	s_waitcnt lgkmcnt(0)
	s_mul_i32 s1, s1, s22
	s_mul_hi_u32 s2, s0, s22
	s_add_i32 s1, s2, s1
	s_mul_i32 s0, s0, s22
	s_lshl_b64 s[0:1], s[0:1], 4
	s_add_u32 s0, s20, s0
	s_addc_u32 s1, s21, s1
	s_waitcnt vmcnt(6)
	v_mul_f64 v[30:31], v[96:97], v[22:23]
	v_mul_f64 v[26:27], v[98:99], v[22:23]
	v_fmac_f64_e32 v[30:31], v[20:21], v[98:99]
	v_fma_f64 v[26:27], v[20:21], v[96:97], -v[26:27]
	v_mul_f64 v[20:21], v[28:29], v[30:31]
	v_fma_f64 v[22:23], v[24:25], v[26:27], -v[20:21]
	v_mul_f64 v[20:21], v[24:25], v[30:31]
	v_fmac_f64_e32 v[20:21], v[28:29], v[26:27]
	v_fma_f64 v[24:25], v[32:33], 2.0, -v[34:35]
	v_fma_f64 v[32:33], v[36:37], 2.0, -v[38:39]
	v_fma_f64 v[36:37], v[90:91], 2.0, -v[92:93]
	s_waitcnt vmcnt(3)
	v_mul_f64 v[26:27], v[52:53], v[56:57]
	v_fma_f64 v[26:27], v[50:51], v[54:55], -v[26:27]
	v_mul_f64 v[28:29], v[50:51], v[56:57]
	v_fmac_f64_e32 v[28:29], v[52:53], v[54:55]
	v_mul_f64 v[34:35], v[26:27], v[48:49]
	v_mul_f64 v[30:31], v[28:29], v[48:49]
	v_fmac_f64_e32 v[34:35], v[46:47], v[28:29]
	v_fma_f64 v[30:31], v[46:47], v[26:27], -v[30:31]
	v_mul_f64 v[26:27], v[32:33], v[34:35]
	v_fma_f64 v[26:27], v[24:25], v[30:31], -v[26:27]
	v_mul_f64 v[24:25], v[24:25], v[34:35]
	v_fmac_f64_e32 v[24:25], v[32:33], v[30:31]
	v_fma_f64 v[28:29], v[62:63], 2.0, -v[86:87]
	s_waitcnt vmcnt(1)
	v_mul_f64 v[30:31], v[60:61], v[68:69]
	v_fma_f64 v[30:31], v[58:59], v[66:67], -v[30:31]
	v_mul_f64 v[32:33], v[58:59], v[68:69]
	v_fmac_f64_e32 v[32:33], v[60:61], v[66:67]
	s_waitcnt vmcnt(0)
	v_mul_f64 v[38:39], v[30:31], v[78:79]
	v_mul_f64 v[34:35], v[32:33], v[78:79]
	v_fmac_f64_e32 v[38:39], v[76:77], v[32:33]
	v_fma_f64 v[34:35], v[76:77], v[30:31], -v[34:35]
	v_mul_f64 v[30:31], v[36:37], v[38:39]
	v_fma_f64 v[30:31], v[28:29], v[34:35], -v[30:31]
	v_mul_f64 v[28:29], v[28:29], v[38:39]
	v_mad_u64_u32 v[32:33], s[2:3], s10, v74, 0
	v_fmac_f64_e32 v[28:29], v[36:37], v[34:35]
	v_mov_b32_e32 v34, v33
	v_mad_u64_u32 v[34:35], s[2:3], s11, v74, v[34:35]
	v_mov_b32_e32 v33, v34
	v_mad_u64_u32 v[34:35], s[2:3], s8, v75, 0
	;; [unrolled: 2-line block ×3, first 2 shown]
	v_mov_b32_e32 v35, v36
	v_lshlrev_b64 v[36:37], 4, v[64:65]
	v_lshl_add_u64 v[36:37], s[0:1], 0, v[36:37]
	v_lshl_add_u64 v[32:33], v[32:33], 4, v[36:37]
	;; [unrolled: 1-line block ×3, first 2 shown]
	global_store_dwordx4 v[34:35], v[28:31], off
	s_nop 1
	v_mad_u64_u32 v[28:29], s[0:1], s8, v73, 0
	v_mov_b32_e32 v30, v29
	v_mad_u64_u32 v[30:31], s[0:1], s9, v73, v[30:31]
	v_mov_b32_e32 v29, v30
	v_lshl_add_u64 v[28:29], v[28:29], 4, v[32:33]
	global_store_dwordx4 v[28:29], v[24:27], off
	s_nop 1
	v_mad_u64_u32 v[24:25], s[0:1], s8, v72, 0
	v_mov_b32_e32 v26, v25
	v_mad_u64_u32 v[26:27], s[0:1], s9, v72, v[26:27]
	v_mov_b32_e32 v25, v26
	v_lshl_add_u64 v[24:25], v[24:25], 4, v[32:33]
	;; [unrolled: 7-line block ×7, first 2 shown]
	global_store_dwordx4 v[4:5], v[0:3], off
.LBB0_21:
	s_endpgm
	.section	.rodata,"a",@progbits
	.p2align	6, 0x0
	.amdhsa_kernel fft_rtc_back_len128_factors_16_8_wgs_256_tpt_16_dp_op_CI_CI_sbcc_twdbase8_3step_dirReg
		.amdhsa_group_segment_fixed_size 0
		.amdhsa_private_segment_fixed_size 0
		.amdhsa_kernarg_size 112
		.amdhsa_user_sgpr_count 2
		.amdhsa_user_sgpr_dispatch_ptr 0
		.amdhsa_user_sgpr_queue_ptr 0
		.amdhsa_user_sgpr_kernarg_segment_ptr 1
		.amdhsa_user_sgpr_dispatch_id 0
		.amdhsa_user_sgpr_kernarg_preload_length 0
		.amdhsa_user_sgpr_kernarg_preload_offset 0
		.amdhsa_user_sgpr_private_segment_size 0
		.amdhsa_uses_dynamic_stack 0
		.amdhsa_enable_private_segment 0
		.amdhsa_system_sgpr_workgroup_id_x 1
		.amdhsa_system_sgpr_workgroup_id_y 0
		.amdhsa_system_sgpr_workgroup_id_z 0
		.amdhsa_system_sgpr_workgroup_info 0
		.amdhsa_system_vgpr_workitem_id 0
		.amdhsa_next_free_vgpr 104
		.amdhsa_next_free_sgpr 53
		.amdhsa_accum_offset 104
		.amdhsa_reserve_vcc 1
		.amdhsa_float_round_mode_32 0
		.amdhsa_float_round_mode_16_64 0
		.amdhsa_float_denorm_mode_32 3
		.amdhsa_float_denorm_mode_16_64 3
		.amdhsa_dx10_clamp 1
		.amdhsa_ieee_mode 1
		.amdhsa_fp16_overflow 0
		.amdhsa_tg_split 0
		.amdhsa_exception_fp_ieee_invalid_op 0
		.amdhsa_exception_fp_denorm_src 0
		.amdhsa_exception_fp_ieee_div_zero 0
		.amdhsa_exception_fp_ieee_overflow 0
		.amdhsa_exception_fp_ieee_underflow 0
		.amdhsa_exception_fp_ieee_inexact 0
		.amdhsa_exception_int_div_zero 0
	.end_amdhsa_kernel
	.text
.Lfunc_end0:
	.size	fft_rtc_back_len128_factors_16_8_wgs_256_tpt_16_dp_op_CI_CI_sbcc_twdbase8_3step_dirReg, .Lfunc_end0-fft_rtc_back_len128_factors_16_8_wgs_256_tpt_16_dp_op_CI_CI_sbcc_twdbase8_3step_dirReg
                                        ; -- End function
	.section	.AMDGPU.csdata,"",@progbits
; Kernel info:
; codeLenInByte = 6964
; NumSgprs: 59
; NumVgprs: 104
; NumAgprs: 0
; TotalNumVgprs: 104
; ScratchSize: 0
; MemoryBound: 1
; FloatMode: 240
; IeeeMode: 1
; LDSByteSize: 0 bytes/workgroup (compile time only)
; SGPRBlocks: 7
; VGPRBlocks: 12
; NumSGPRsForWavesPerEU: 59
; NumVGPRsForWavesPerEU: 104
; AccumOffset: 104
; Occupancy: 4
; WaveLimiterHint : 1
; COMPUTE_PGM_RSRC2:SCRATCH_EN: 0
; COMPUTE_PGM_RSRC2:USER_SGPR: 2
; COMPUTE_PGM_RSRC2:TRAP_HANDLER: 0
; COMPUTE_PGM_RSRC2:TGID_X_EN: 1
; COMPUTE_PGM_RSRC2:TGID_Y_EN: 0
; COMPUTE_PGM_RSRC2:TGID_Z_EN: 0
; COMPUTE_PGM_RSRC2:TIDIG_COMP_CNT: 0
; COMPUTE_PGM_RSRC3_GFX90A:ACCUM_OFFSET: 25
; COMPUTE_PGM_RSRC3_GFX90A:TG_SPLIT: 0
	.text
	.p2alignl 6, 3212836864
	.fill 256, 4, 3212836864
	.type	__hip_cuid_6755a7c66e4d4fb6,@object ; @__hip_cuid_6755a7c66e4d4fb6
	.section	.bss,"aw",@nobits
	.globl	__hip_cuid_6755a7c66e4d4fb6
__hip_cuid_6755a7c66e4d4fb6:
	.byte	0                               ; 0x0
	.size	__hip_cuid_6755a7c66e4d4fb6, 1

	.ident	"AMD clang version 19.0.0git (https://github.com/RadeonOpenCompute/llvm-project roc-6.4.0 25133 c7fe45cf4b819c5991fe208aaa96edf142730f1d)"
	.section	".note.GNU-stack","",@progbits
	.addrsig
	.addrsig_sym __hip_cuid_6755a7c66e4d4fb6
	.amdgpu_metadata
---
amdhsa.kernels:
  - .agpr_count:     0
    .args:
      - .actual_access:  read_only
        .address_space:  global
        .offset:         0
        .size:           8
        .value_kind:     global_buffer
      - .address_space:  global
        .offset:         8
        .size:           8
        .value_kind:     global_buffer
      - .offset:         16
        .size:           8
        .value_kind:     by_value
      - .actual_access:  read_only
        .address_space:  global
        .offset:         24
        .size:           8
        .value_kind:     global_buffer
      - .actual_access:  read_only
        .address_space:  global
        .offset:         32
        .size:           8
        .value_kind:     global_buffer
      - .actual_access:  read_only
        .address_space:  global
        .offset:         40
        .size:           8
        .value_kind:     global_buffer
      - .offset:         48
        .size:           8
        .value_kind:     by_value
      - .actual_access:  read_only
        .address_space:  global
        .offset:         56
        .size:           8
        .value_kind:     global_buffer
      - .actual_access:  read_only
        .address_space:  global
        .offset:         64
        .size:           8
        .value_kind:     global_buffer
      - .offset:         72
        .size:           4
        .value_kind:     by_value
      - .actual_access:  read_only
        .address_space:  global
        .offset:         80
        .size:           8
        .value_kind:     global_buffer
      - .actual_access:  read_only
        .address_space:  global
        .offset:         88
        .size:           8
        .value_kind:     global_buffer
      - .actual_access:  read_only
        .address_space:  global
        .offset:         96
        .size:           8
        .value_kind:     global_buffer
      - .actual_access:  write_only
        .address_space:  global
        .offset:         104
        .size:           8
        .value_kind:     global_buffer
    .group_segment_fixed_size: 0
    .kernarg_segment_align: 8
    .kernarg_segment_size: 112
    .language:       OpenCL C
    .language_version:
      - 2
      - 0
    .max_flat_workgroup_size: 256
    .name:           fft_rtc_back_len128_factors_16_8_wgs_256_tpt_16_dp_op_CI_CI_sbcc_twdbase8_3step_dirReg
    .private_segment_fixed_size: 0
    .sgpr_count:     59
    .sgpr_spill_count: 0
    .symbol:         fft_rtc_back_len128_factors_16_8_wgs_256_tpt_16_dp_op_CI_CI_sbcc_twdbase8_3step_dirReg.kd
    .uniform_work_group_size: 1
    .uses_dynamic_stack: false
    .vgpr_count:     104
    .vgpr_spill_count: 0
    .wavefront_size: 64
amdhsa.target:   amdgcn-amd-amdhsa--gfx950
amdhsa.version:
  - 1
  - 2
...

	.end_amdgpu_metadata
